;; amdgpu-corpus repo=ROCm/rocFFT kind=compiled arch=gfx1030 opt=O3
	.text
	.amdgcn_target "amdgcn-amd-amdhsa--gfx1030"
	.amdhsa_code_object_version 6
	.protected	bluestein_single_back_len1125_dim1_dp_op_CI_CI ; -- Begin function bluestein_single_back_len1125_dim1_dp_op_CI_CI
	.globl	bluestein_single_back_len1125_dim1_dp_op_CI_CI
	.p2align	8
	.type	bluestein_single_back_len1125_dim1_dp_op_CI_CI,@function
bluestein_single_back_len1125_dim1_dp_op_CI_CI: ; @bluestein_single_back_len1125_dim1_dp_op_CI_CI
; %bb.0:
	s_load_dwordx4 s[12:15], s[4:5], 0x28
	v_mul_u32_u24_e32 v1, 0x124, v0
	v_mov_b32_e32 v93, 0
	s_mov_b32 s0, exec_lo
	v_lshrrev_b32_e32 v1, 16, v1
	v_add_nc_u32_e32 v92, s6, v1
	s_waitcnt lgkmcnt(0)
	v_cmpx_gt_u64_e64 s[12:13], v[92:93]
	s_cbranch_execz .LBB0_18
; %bb.1:
	s_clause 0x1
	s_load_dwordx4 s[8:11], s[4:5], 0x18
	s_load_dwordx4 s[0:3], s[4:5], 0x0
	v_mul_lo_u16 v1, 0xe1, v1
	s_mov_b32 s7, 0xbfee6f0e
	s_mov_b32 s12, 0x4755a5e
	;; [unrolled: 1-line block ×3, first 2 shown]
	v_sub_nc_u16 v36, v0, v1
	v_and_b32_e32 v93, 0xffff, v36
	v_and_b32_e32 v73, 0xff, v36
	v_lshlrev_b32_e32 v94, 4, v93
	s_waitcnt lgkmcnt(0)
	s_load_dwordx4 s[16:19], s[8:9], 0x0
	v_add_co_u32 v96, s6, s0, v94
	v_add_co_ci_u32_e64 v95, null, s1, 0, s6
	global_load_dwordx4 v[0:3], v94, s[0:1]
	s_waitcnt lgkmcnt(0)
	v_mad_u64_u32 v[4:5], null, s18, v92, 0
	v_mad_u64_u32 v[6:7], null, s16, v93, 0
	s_mul_i32 s0, s17, 0xe10
	s_mul_hi_u32 s1, s16, 0xe10
	s_mul_i32 s6, s16, 0xe10
	s_add_i32 s1, s1, s0
	v_mad_u64_u32 v[8:9], null, s19, v92, v[5:6]
	v_add_co_u32 v9, vcc_lo, 0x800, v96
	v_add_co_ci_u32_e32 v10, vcc_lo, 0, v95, vcc_lo
	v_mad_u64_u32 v[11:12], null, s17, v93, v[7:8]
	v_mov_b32_e32 v5, v8
	v_add_co_u32 v12, vcc_lo, 0x1800, v96
	v_add_co_ci_u32_e32 v13, vcc_lo, 0, v95, vcc_lo
	v_add_co_u32 v14, vcc_lo, 0x2800, v96
	v_mov_b32_e32 v7, v11
	v_lshlrev_b64 v[4:5], 4, v[4:5]
	v_add_co_ci_u32_e32 v15, vcc_lo, 0, v95, vcc_lo
	v_add_co_u32 v16, vcc_lo, 0x3800, v96
	v_add_co_ci_u32_e32 v17, vcc_lo, 0, v95, vcc_lo
	v_lshlrev_b64 v[6:7], 4, v[6:7]
	v_add_co_u32 v4, vcc_lo, s14, v4
	v_add_co_ci_u32_e32 v5, vcc_lo, s15, v5, vcc_lo
	s_mov_b32 s15, 0xbfe2cf23
	v_add_co_u32 v18, vcc_lo, v4, v6
	v_add_co_ci_u32_e32 v19, vcc_lo, v5, v7, vcc_lo
	global_load_dwordx4 v[4:7], v[9:10], off offset:1552
	v_add_co_u32 v24, vcc_lo, v18, s6
	v_add_co_ci_u32_e32 v25, vcc_lo, s1, v19, vcc_lo
	global_load_dwordx4 v[8:11], v[12:13], off offset:1056
	v_add_co_u32 v28, vcc_lo, v24, s6
	v_add_co_ci_u32_e32 v29, vcc_lo, s1, v25, vcc_lo
	s_clause 0x1
	global_load_dwordx4 v[20:23], v[18:19], off
	global_load_dwordx4 v[24:27], v[24:25], off
	v_add_co_u32 v32, vcc_lo, v28, s6
	v_add_co_ci_u32_e32 v33, vcc_lo, s1, v29, vcc_lo
	s_mov_b32 s14, s12
	v_add_co_u32 v37, vcc_lo, v32, s6
	v_add_co_ci_u32_e32 v38, vcc_lo, s1, v33, vcc_lo
	global_load_dwordx4 v[28:31], v[28:29], off
	global_load_dwordx4 v[12:15], v[14:15], off offset:560
	global_load_dwordx4 v[32:35], v[32:33], off
	global_load_dwordx4 v[16:19], v[16:17], off offset:64
	global_load_dwordx4 v[37:40], v[37:38], off
	s_load_dwordx4 s[8:11], s[10:11], 0x0
	s_mov_b32 s0, 0x134454ff
	s_mov_b32 s1, 0x3fee6f0e
	;; [unrolled: 1-line block ×5, first 2 shown]
	v_cmp_gt_u16_e32 vcc_lo, 0x96, v36
	s_waitcnt vmcnt(6)
	v_mul_f64 v[41:42], v[22:23], v[2:3]
	v_mul_f64 v[43:44], v[20:21], v[2:3]
	s_waitcnt vmcnt(5)
	v_mul_f64 v[45:46], v[26:27], v[6:7]
	v_mul_f64 v[47:48], v[24:25], v[6:7]
	s_waitcnt vmcnt(4)
	v_mul_f64 v[49:50], v[30:31], v[10:11]
	v_mul_f64 v[51:52], v[28:29], v[10:11]
	s_waitcnt vmcnt(2)
	v_mul_f64 v[53:54], v[34:35], v[14:15]
	v_mul_f64 v[55:56], v[32:33], v[14:15]
	s_waitcnt vmcnt(0)
	v_mul_f64 v[57:58], v[39:40], v[18:19]
	v_mul_f64 v[59:60], v[37:38], v[18:19]
	v_fma_f64 v[20:21], v[20:21], v[0:1], v[41:42]
	v_fma_f64 v[22:23], v[22:23], v[0:1], -v[43:44]
	v_fma_f64 v[24:25], v[24:25], v[4:5], v[45:46]
	v_fma_f64 v[26:27], v[26:27], v[4:5], -v[47:48]
	;; [unrolled: 2-line block ×5, first 2 shown]
	ds_write_b128 v94, v[20:23]
	ds_write_b128 v94, v[24:27] offset:3600
	ds_write_b128 v94, v[28:31] offset:7200
	;; [unrolled: 1-line block ×4, first 2 shown]
	s_waitcnt lgkmcnt(0)
	s_barrier
	buffer_gl0_inv
	ds_read_b128 v[20:23], v94 offset:7200
	ds_read_b128 v[24:27], v94 offset:10800
	;; [unrolled: 1-line block ×4, first 2 shown]
	ds_read_b128 v[37:40], v94
	s_waitcnt lgkmcnt(0)
	s_barrier
	buffer_gl0_inv
	v_add_f64 v[41:42], v[20:21], v[24:25]
	v_add_f64 v[43:44], v[22:23], v[26:27]
	;; [unrolled: 1-line block ×6, first 2 shown]
	v_add_f64 v[55:56], v[30:31], -v[34:35]
	v_add_f64 v[57:58], v[28:29], -v[32:33]
	;; [unrolled: 1-line block ×9, first 2 shown]
	v_fma_f64 v[41:42], v[41:42], -0.5, v[37:38]
	v_fma_f64 v[43:44], v[43:44], -0.5, v[39:40]
	;; [unrolled: 1-line block ×3, first 2 shown]
	v_add_f64 v[45:46], v[20:21], -v[24:25]
	v_fma_f64 v[39:40], v[47:48], -0.5, v[39:40]
	v_add_f64 v[47:48], v[28:29], -v[20:21]
	v_add_f64 v[28:29], v[20:21], -v[28:29]
	v_add_f64 v[20:21], v[49:50], v[20:21]
	v_add_f64 v[22:23], v[51:52], v[22:23]
	;; [unrolled: 1-line block ×4, first 2 shown]
	v_fma_f64 v[49:50], v[55:56], s[0:1], v[41:42]
	v_fma_f64 v[41:42], v[55:56], s[6:7], v[41:42]
	;; [unrolled: 1-line block ×8, first 2 shown]
	v_add_f64 v[20:21], v[20:21], v[24:25]
	v_add_f64 v[22:23], v[22:23], v[26:27]
	;; [unrolled: 1-line block ×4, first 2 shown]
	v_mul_lo_u16 v28, 0xcd, v73
	v_lshrrev_b16 v89, 10, v28
	v_fma_f64 v[24:25], v[53:54], s[12:13], v[49:50]
	v_fma_f64 v[26:27], v[53:54], s[14:15], v[41:42]
	;; [unrolled: 1-line block ×8, first 2 shown]
	v_add_f64 v[20:21], v[20:21], v[32:33]
	v_add_f64 v[22:23], v[22:23], v[34:35]
	v_mul_lo_u16 v45, v89, 5
	v_fma_f64 v[24:25], v[47:48], s[16:17], v[24:25]
	v_fma_f64 v[28:29], v[47:48], s[16:17], v[26:27]
	;; [unrolled: 1-line block ×8, first 2 shown]
	v_sub_nc_u16 v41, v36, v45
	v_mov_b32_e32 v42, 4
	v_mul_lo_u16 v43, v36, 5
	v_and_b32_e32 v90, 0xff, v41
	v_lshlrev_b32_sdwa v97, v42, v43 dst_sel:DWORD dst_unused:UNUSED_PAD src0_sel:DWORD src1_sel:WORD_0
	ds_write_b128 v97, v[20:23]
	ds_write_b128 v97, v[24:27] offset:16
	ds_write_b128 v97, v[32:35] offset:32
	;; [unrolled: 1-line block ×4, first 2 shown]
	v_lshlrev_b32_e32 v41, 6, v90
	s_waitcnt lgkmcnt(0)
	s_barrier
	buffer_gl0_inv
	s_clause 0x3
	global_load_dwordx4 v[24:27], v41, s[2:3]
	global_load_dwordx4 v[20:23], v41, s[2:3] offset:16
	global_load_dwordx4 v[28:31], v41, s[2:3] offset:48
	;; [unrolled: 1-line block ×3, first 2 shown]
	ds_read_b128 v[37:40], v94 offset:3600
	ds_read_b128 v[41:44], v94 offset:7200
	;; [unrolled: 1-line block ×4, first 2 shown]
	ds_read_b128 v[53:56], v94
	s_waitcnt vmcnt(0) lgkmcnt(0)
	s_barrier
	buffer_gl0_inv
	v_mul_f64 v[57:58], v[39:40], v[26:27]
	v_mul_f64 v[59:60], v[37:38], v[26:27]
	;; [unrolled: 1-line block ×8, first 2 shown]
	v_fma_f64 v[37:38], v[37:38], v[24:25], -v[57:58]
	v_fma_f64 v[39:40], v[39:40], v[24:25], v[59:60]
	v_fma_f64 v[41:42], v[41:42], v[20:21], -v[61:62]
	v_fma_f64 v[45:46], v[45:46], v[28:29], -v[63:64]
	v_fma_f64 v[47:48], v[47:48], v[28:29], v[65:66]
	v_fma_f64 v[43:44], v[43:44], v[20:21], v[67:68]
	v_fma_f64 v[49:50], v[49:50], v[32:33], -v[69:70]
	v_fma_f64 v[51:52], v[51:52], v[32:33], v[71:72]
	v_add_f64 v[71:72], v[53:54], v[37:38]
	v_add_f64 v[73:74], v[55:56], v[39:40]
	;; [unrolled: 1-line block ×4, first 2 shown]
	v_add_f64 v[67:68], v[39:40], -v[47:48]
	v_add_f64 v[61:62], v[41:42], v[49:50]
	v_add_f64 v[63:64], v[43:44], v[51:52]
	v_add_f64 v[65:66], v[43:44], -v[51:52]
	v_add_f64 v[75:76], v[37:38], -v[45:46]
	;; [unrolled: 1-line block ×8, first 2 shown]
	v_add_f64 v[43:44], v[73:74], v[43:44]
	v_fma_f64 v[57:58], v[57:58], -0.5, v[53:54]
	v_fma_f64 v[59:60], v[59:60], -0.5, v[55:56]
	;; [unrolled: 1-line block ×4, first 2 shown]
	v_add_f64 v[61:62], v[41:42], -v[37:38]
	v_add_f64 v[63:64], v[49:50], -v[45:46]
	;; [unrolled: 1-line block ×3, first 2 shown]
	v_add_f64 v[41:42], v[71:72], v[41:42]
	v_fma_f64 v[71:72], v[65:66], s[6:7], v[57:58]
	v_fma_f64 v[57:58], v[65:66], s[0:1], v[57:58]
	;; [unrolled: 1-line block ×8, first 2 shown]
	v_add_f64 v[61:62], v[61:62], v[63:64]
	v_add_f64 v[63:64], v[77:78], v[79:80]
	;; [unrolled: 1-line block ×6, first 2 shown]
	s_load_dwordx2 s[6:7], s[4:5], 0x38
	v_fma_f64 v[41:42], v[67:68], s[12:13], v[71:72]
	v_fma_f64 v[49:50], v[67:68], s[14:15], v[57:58]
	;; [unrolled: 1-line block ×8, first 2 shown]
                                        ; implicit-def: $vgpr72_vgpr73
	v_add_f64 v[37:38], v[37:38], v[45:46]
	v_add_f64 v[39:40], v[39:40], v[47:48]
	v_fma_f64 v[41:42], v[61:62], s[16:17], v[41:42]
	v_fma_f64 v[52:53], v[61:62], s[16:17], v[49:50]
	;; [unrolled: 1-line block ×8, first 2 shown]
	v_mov_b32_e32 v49, 25
	v_mul_u32_u24_sdwa v49, v89, v49 dst_sel:DWORD dst_unused:UNUSED_PAD src0_sel:WORD_0 src1_sel:DWORD
	v_add_lshl_u32 v100, v49, v90, 4
	ds_write_b128 v100, v[37:40]
	ds_write_b128 v100, v[45:48] offset:80
	ds_write_b128 v100, v[41:44] offset:160
	;; [unrolled: 1-line block ×4, first 2 shown]
	s_waitcnt lgkmcnt(0)
	s_barrier
	buffer_gl0_inv
	ds_read_b128 v[56:59], v94
	ds_read_b128 v[64:67], v94 offset:6000
	ds_read_b128 v[68:71], v94 offset:12000
	s_and_saveexec_b32 s0, vcc_lo
	s_cbranch_execz .LBB0_3
; %bb.2:
	ds_read_b128 v[52:55], v94 offset:3600
	ds_read_b128 v[60:63], v94 offset:9600
	;; [unrolled: 1-line block ×3, first 2 shown]
.LBB0_3:
	s_or_b32 exec_lo, exec_lo, s0
	v_add_nc_u16 v102, v93, 0xe1
	v_mov_b32_e32 v36, 0x47af
	v_and_b32_e32 v103, 0xff, v93
	s_mov_b32 s5, 0xbfebb67a
	v_mul_u32_u24_sdwa v36, v102, v36 dst_sel:DWORD dst_unused:UNUSED_PAD src0_sel:WORD_0 src1_sel:DWORD
	v_mul_lo_u16 v38, v103, 41
	v_lshrrev_b32_e32 v36, 16, v36
	v_lshrrev_b16 v101, 10, v38
	v_sub_nc_u16 v37, v102, v36
	v_lshrrev_b16 v37, 1, v37
	v_add_nc_u16 v36, v37, v36
	v_lshrrev_b16 v98, 4, v36
	v_mul_lo_u16 v36, v101, 25
	v_mul_lo_u16 v37, v98, 25
	v_sub_nc_u16 v36, v93, v36
	v_sub_nc_u16 v99, v102, v37
	v_and_b32_e32 v108, 0xff, v36
	v_lshlrev_b16 v36, 5, v99
	v_lshlrev_b32_e32 v40, 5, v108
	v_and_b32_e32 v44, 0xffff, v36
	s_clause 0x1
	global_load_dwordx4 v[36:39], v40, s[2:3] offset:336
	global_load_dwordx4 v[40:43], v40, s[2:3] offset:320
	v_add_co_u32 v44, s0, s2, v44
	v_add_co_ci_u32_e64 v45, null, s3, 0, s0
	s_mov_b32 s0, 0xe8584caa
	s_mov_b32 s1, 0x3febb67a
	s_clause 0x1
	global_load_dwordx4 v[48:51], v[44:45], off offset:320
	global_load_dwordx4 v[44:47], v[44:45], off offset:336
	s_mov_b32 s4, s0
	s_waitcnt vmcnt(0) lgkmcnt(0)
	s_barrier
	buffer_gl0_inv
	v_mul_f64 v[78:79], v[70:71], v[38:39]
	v_mul_f64 v[76:77], v[66:67], v[42:43]
	;; [unrolled: 1-line block ×8, first 2 shown]
	v_fma_f64 v[68:69], v[68:69], v[36:37], -v[78:79]
	v_fma_f64 v[64:65], v[64:65], v[40:41], -v[76:77]
	v_fma_f64 v[66:67], v[66:67], v[40:41], v[80:81]
	v_fma_f64 v[70:71], v[70:71], v[36:37], v[82:83]
	v_fma_f64 v[60:61], v[60:61], v[48:49], -v[84:85]
	v_fma_f64 v[72:73], v[72:73], v[44:45], -v[86:87]
	v_fma_f64 v[62:63], v[62:63], v[48:49], v[88:89]
	v_fma_f64 v[74:75], v[74:75], v[44:45], v[90:91]
	v_add_f64 v[76:77], v[64:65], v[68:69]
	v_add_f64 v[84:85], v[56:57], v[64:65]
	;; [unrolled: 1-line block ×3, first 2 shown]
	v_add_f64 v[86:87], v[66:67], -v[70:71]
	v_add_f64 v[66:67], v[58:59], v[66:67]
	v_add_f64 v[64:65], v[64:65], -v[68:69]
	v_add_f64 v[88:89], v[52:53], v[60:61]
	v_add_f64 v[80:81], v[60:61], v[72:73]
	v_add_f64 v[104:105], v[54:55], v[62:63]
	v_add_f64 v[82:83], v[62:63], v[74:75]
	v_add_f64 v[90:91], v[62:63], -v[74:75]
	v_add_f64 v[106:107], v[60:61], -v[72:73]
	v_fma_f64 v[76:77], v[76:77], -0.5, v[56:57]
	v_fma_f64 v[78:79], v[78:79], -0.5, v[58:59]
	v_fma_f64 v[80:81], v[80:81], -0.5, v[52:53]
	v_add_f64 v[52:53], v[84:85], v[68:69]
	v_fma_f64 v[82:83], v[82:83], -0.5, v[54:55]
	v_add_f64 v[54:55], v[66:67], v[70:71]
	v_add_f64 v[68:69], v[88:89], v[72:73]
	;; [unrolled: 1-line block ×3, first 2 shown]
	v_fma_f64 v[56:57], v[86:87], s[0:1], v[76:77]
	v_fma_f64 v[60:61], v[86:87], s[4:5], v[76:77]
	;; [unrolled: 1-line block ×4, first 2 shown]
	v_mov_b32_e32 v64, 0x4b
	v_mul_u32_u24_sdwa v64, v101, v64 dst_sel:DWORD dst_unused:UNUSED_PAD src0_sel:WORD_0 src1_sel:DWORD
	v_fma_f64 v[72:73], v[90:91], s[0:1], v[80:81]
	v_fma_f64 v[80:81], v[90:91], s[4:5], v[80:81]
	;; [unrolled: 1-line block ×4, first 2 shown]
	v_add_lshl_u32 v101, v64, v108, 4
	ds_write_b128 v101, v[52:55]
	ds_write_b128 v101, v[56:59] offset:400
	ds_write_b128 v101, v[60:63] offset:800
	s_and_saveexec_b32 s0, vcc_lo
	s_cbranch_execz .LBB0_5
; %bb.4:
	v_mad_u16 v52, 0x4b, v98, v99
	v_mov_b32_e32 v53, 4
	v_lshlrev_b32_sdwa v52, v53, v52 dst_sel:DWORD dst_unused:UNUSED_PAD src0_sel:DWORD src1_sel:WORD_0
	ds_write_b128 v52, v[68:71]
	ds_write_b128 v52, v[72:75] offset:400
	ds_write_b128 v52, v[80:83] offset:800
.LBB0_5:
	s_or_b32 exec_lo, exec_lo, s0
	s_waitcnt lgkmcnt(0)
	s_barrier
	buffer_gl0_inv
	ds_read_b128 v[76:79], v94
	ds_read_b128 v[88:91], v94 offset:6000
	ds_read_b128 v[84:87], v94 offset:12000
	s_and_saveexec_b32 s0, vcc_lo
	s_cbranch_execz .LBB0_7
; %bb.6:
	ds_read_b128 v[68:71], v94 offset:3600
	ds_read_b128 v[72:75], v94 offset:9600
	;; [unrolled: 1-line block ×3, first 2 shown]
.LBB0_7:
	s_or_b32 exec_lo, exec_lo, s0
	v_mov_b32_e32 v52, 0xb4e9
	v_mul_u32_u24_sdwa v52, v102, v52 dst_sel:DWORD dst_unused:UNUSED_PAD src0_sel:WORD_0 src1_sel:DWORD
	v_lshrrev_b32_e32 v52, 16, v52
	v_sub_nc_u16 v53, v102, v52
	v_lshrrev_b16 v53, 1, v53
	v_add_nc_u16 v52, v53, v52
	v_mul_lo_u16 v53, 0xdb, v103
	v_lshrrev_b16 v120, 6, v52
	v_lshrrev_b16 v121, 14, v53
	v_mul_lo_u16 v52, 0x4b, v120
	v_mul_lo_u16 v53, 0x4b, v121
	v_sub_nc_u16 v122, v102, v52
	v_sub_nc_u16 v52, v93, v53
	v_lshlrev_b16 v53, 5, v122
	v_and_b32_e32 v123, 0xff, v52
	v_and_b32_e32 v52, 0xffff, v53
	v_lshlrev_b32_e32 v54, 5, v123
	v_add_co_u32 v52, s0, s2, v52
	v_add_co_ci_u32_e64 v53, null, s3, 0, s0
	s_mov_b32 s0, 0xe8584caa
	s_clause 0x3
	global_load_dwordx4 v[64:67], v54, s[2:3] offset:1120
	global_load_dwordx4 v[60:63], v54, s[2:3] offset:1136
	global_load_dwordx4 v[56:59], v[52:53], off offset:1120
	global_load_dwordx4 v[52:55], v[52:53], off offset:1136
	s_mov_b32 s1, 0x3febb67a
	s_mov_b32 s4, s0
	s_waitcnt vmcnt(0) lgkmcnt(0)
	s_barrier
	buffer_gl0_inv
	v_mul_f64 v[102:103], v[90:91], v[66:67]
	v_mul_f64 v[104:105], v[88:89], v[66:67]
	;; [unrolled: 1-line block ×8, first 2 shown]
	v_fma_f64 v[102:103], v[88:89], v[64:65], -v[102:103]
	v_fma_f64 v[104:105], v[90:91], v[64:65], v[104:105]
	v_fma_f64 v[84:85], v[84:85], v[60:61], -v[106:107]
	v_fma_f64 v[86:87], v[86:87], v[60:61], v[108:109]
	;; [unrolled: 2-line block ×4, first 2 shown]
	v_add_f64 v[110:111], v[76:77], v[102:103]
	v_add_f64 v[114:115], v[78:79], v[104:105]
	;; [unrolled: 1-line block ×4, first 2 shown]
	v_add_f64 v[112:113], v[104:105], -v[86:87]
	v_add_f64 v[102:103], v[102:103], -v[84:85]
	v_add_f64 v[106:107], v[88:89], v[72:73]
	v_add_f64 v[108:109], v[90:91], v[74:75]
	;; [unrolled: 1-line block ×3, first 2 shown]
	v_fma_f64 v[116:117], v[80:81], -0.5, v[76:77]
	v_fma_f64 v[118:119], v[82:83], -0.5, v[78:79]
	v_add_f64 v[78:79], v[90:91], -v[74:75]
	v_add_f64 v[82:83], v[88:89], -v[72:73]
	v_fma_f64 v[76:77], v[106:107], -0.5, v[68:69]
	v_fma_f64 v[80:81], v[108:109], -0.5, v[70:71]
	v_add_f64 v[106:107], v[114:115], v[86:87]
	v_fma_f64 v[108:109], v[112:113], s[0:1], v[116:117]
	v_fma_f64 v[110:111], v[102:103], s[4:5], v[118:119]
	;; [unrolled: 1-line block ×6, first 2 shown]
	v_mov_b32_e32 v102, 0xe1
	v_mul_u32_u24_sdwa v102, v121, v102 dst_sel:DWORD dst_unused:UNUSED_PAD src0_sel:WORD_0 src1_sel:DWORD
	v_add_lshl_u32 v103, v102, v123, 4
	v_mad_u16 v102, 0xe1, v120, v122
	ds_write_b128 v103, v[104:107]
	ds_write_b128 v103, v[108:111] offset:1200
	ds_write_b128 v103, v[112:115] offset:2400
	s_and_saveexec_b32 s4, vcc_lo
	s_cbranch_execz .LBB0_9
; %bb.8:
	v_add_f64 v[90:91], v[70:71], v[90:91]
	v_add_f64 v[68:69], v[68:69], v[88:89]
	v_mul_f64 v[82:83], v[82:83], s[0:1]
	v_mul_f64 v[78:79], v[78:79], s[0:1]
	v_add_f64 v[74:75], v[90:91], v[74:75]
	v_add_f64 v[72:73], v[68:69], v[72:73]
	v_add_f64 v[70:71], v[80:81], -v[82:83]
	v_add_f64 v[68:69], v[78:79], v[76:77]
	v_mov_b32_e32 v76, 4
	v_lshlrev_b32_sdwa v76, v76, v102 dst_sel:DWORD dst_unused:UNUSED_PAD src0_sel:DWORD src1_sel:WORD_0
	ds_write_b128 v76, v[72:75]
	ds_write_b128 v76, v[68:71] offset:1200
	ds_write_b128 v76, v[84:87] offset:2400
.LBB0_9:
	s_or_b32 exec_lo, exec_lo, s4
	v_lshlrev_b32_e32 v68, 6, v93
	s_waitcnt lgkmcnt(0)
	s_barrier
	buffer_gl0_inv
	s_mov_b32 s12, 0x134454ff
	v_add_co_u32 v69, s0, s2, v68
	v_add_co_ci_u32_e64 v70, null, s3, 0, s0
	s_mov_b32 s13, 0x3fee6f0e
	v_add_co_u32 v68, s0, 0x800, v69
	v_add_co_u32 v72, s1, 0xdc0, v69
	v_add_co_ci_u32_e64 v69, s0, 0, v70, s0
	v_add_co_ci_u32_e64 v73, s0, 0, v70, s1
	s_clause 0x3
	global_load_dwordx4 v[68:71], v[68:69], off offset:1472
	global_load_dwordx4 v[80:83], v[72:73], off offset:16
	;; [unrolled: 1-line block ×4, first 2 shown]
	ds_read_b128 v[88:91], v94 offset:3600
	ds_read_b128 v[104:107], v94 offset:7200
	;; [unrolled: 1-line block ×4, first 2 shown]
	s_mov_b32 s15, 0xbfee6f0e
	s_mov_b32 s14, s12
	;; [unrolled: 1-line block ×8, first 2 shown]
	s_waitcnt vmcnt(3) lgkmcnt(3)
	v_mul_f64 v[116:117], v[90:91], v[70:71]
	s_waitcnt vmcnt(2) lgkmcnt(2)
	v_mul_f64 v[118:119], v[106:107], v[82:83]
	;; [unrolled: 2-line block ×4, first 2 shown]
	v_mul_f64 v[126:127], v[104:105], v[82:83]
	v_mul_f64 v[128:129], v[108:109], v[78:79]
	;; [unrolled: 1-line block ×4, first 2 shown]
	v_fma_f64 v[116:117], v[88:89], v[68:69], -v[116:117]
	v_fma_f64 v[104:105], v[104:105], v[80:81], -v[118:119]
	;; [unrolled: 1-line block ×4, first 2 shown]
	v_fma_f64 v[106:107], v[106:107], v[80:81], v[126:127]
	v_fma_f64 v[110:111], v[110:111], v[76:77], v[128:129]
	;; [unrolled: 1-line block ×4, first 2 shown]
	ds_read_b128 v[88:91], v94
	v_add_f64 v[120:121], v[104:105], v[108:109]
	v_add_f64 v[122:123], v[116:117], v[112:113]
	v_add_f64 v[136:137], v[116:117], -v[112:113]
	v_add_f64 v[124:125], v[106:107], v[110:111]
	s_waitcnt lgkmcnt(0)
	v_add_f64 v[128:129], v[88:89], v[116:117]
	v_add_f64 v[126:127], v[118:119], v[114:115]
	;; [unrolled: 1-line block ×3, first 2 shown]
	v_add_f64 v[130:131], v[118:119], -v[114:115]
	v_add_f64 v[132:133], v[106:107], -v[110:111]
	;; [unrolled: 1-line block ×8, first 2 shown]
	v_fma_f64 v[120:121], v[120:121], -0.5, v[88:89]
	v_fma_f64 v[88:89], v[122:123], -0.5, v[88:89]
	v_add_f64 v[122:123], v[104:105], -v[108:109]
	v_fma_f64 v[124:125], v[124:125], -0.5, v[90:91]
	v_fma_f64 v[90:91], v[126:127], -0.5, v[90:91]
	v_add_f64 v[126:127], v[116:117], -v[104:105]
	v_add_f64 v[116:117], v[104:105], -v[116:117]
	v_add_f64 v[104:105], v[128:129], v[104:105]
	v_add_f64 v[106:107], v[134:135], v[106:107]
	;; [unrolled: 1-line block ×3, first 2 shown]
	v_fma_f64 v[128:129], v[130:131], s[12:13], v[120:121]
	v_fma_f64 v[120:121], v[130:131], s[14:15], v[120:121]
	;; [unrolled: 1-line block ×8, first 2 shown]
	v_add_f64 v[104:105], v[104:105], v[108:109]
	v_add_f64 v[106:107], v[106:107], v[110:111]
	;; [unrolled: 1-line block ×5, first 2 shown]
	v_fma_f64 v[108:109], v[132:133], s[18:19], v[128:129]
	v_fma_f64 v[110:111], v[132:133], s[16:17], v[120:121]
	v_fma_f64 v[120:121], v[130:131], s[18:19], v[134:135]
	v_fma_f64 v[128:129], v[130:131], s[16:17], v[88:89]
	v_fma_f64 v[130:131], v[122:123], s[16:17], v[148:149]
	v_fma_f64 v[132:133], v[136:137], s[16:17], v[150:151]
	v_fma_f64 v[134:135], v[136:137], s[18:19], v[90:91]
	v_fma_f64 v[122:123], v[122:123], s[18:19], v[124:125]
	v_add_f64 v[88:89], v[104:105], v[112:113]
	v_add_f64 v[90:91], v[106:107], v[114:115]
	v_add_co_u32 v124, s2, 0x6000, v96
	v_fma_f64 v[104:105], v[126:127], s[20:21], v[108:109]
	v_fma_f64 v[108:109], v[126:127], s[20:21], v[110:111]
	;; [unrolled: 1-line block ×8, first 2 shown]
	v_add_co_u32 v120, s0, 0x4000, v96
	v_add_co_u32 v122, s1, 0x5000, v96
	v_add_co_ci_u32_e64 v121, s0, 0, v95, s0
	v_add_co_ci_u32_e64 v123, s0, 0, v95, s1
	v_add_co_u32 v126, s3, 0x7000, v96
	v_add_co_u32 v128, s4, 0x7800, v96
	v_add_co_ci_u32_e64 v125, s0, 0, v95, s2
	v_add_co_ci_u32_e64 v127, s0, 0, v95, s3
	ds_write_b128 v94, v[88:91]
	ds_write_b128 v94, v[104:107] offset:3600
	ds_write_b128 v94, v[112:115] offset:7200
	;; [unrolled: 1-line block ×4, first 2 shown]
	s_waitcnt lgkmcnt(0)
	s_barrier
	buffer_gl0_inv
	s_clause 0x1
	global_load_dwordx4 v[88:91], v[120:121], off offset:1616
	global_load_dwordx4 v[104:107], v[122:123], off offset:1120
	v_add_co_ci_u32_e64 v129, s0, 0, v95, s4
	s_clause 0x2
	global_load_dwordx4 v[108:111], v[124:125], off offset:624
	global_load_dwordx4 v[112:115], v[126:127], off offset:128
	global_load_dwordx4 v[116:119], v[128:129], off offset:1680
	ds_read_b128 v[120:123], v94
	ds_read_b128 v[124:127], v94 offset:3600
	ds_read_b128 v[128:131], v94 offset:7200
	;; [unrolled: 1-line block ×4, first 2 shown]
	s_waitcnt vmcnt(4) lgkmcnt(4)
	v_mul_f64 v[95:96], v[122:123], v[90:91]
	v_mul_f64 v[90:91], v[120:121], v[90:91]
	s_waitcnt vmcnt(3) lgkmcnt(3)
	v_mul_f64 v[140:141], v[126:127], v[106:107]
	v_mul_f64 v[106:107], v[124:125], v[106:107]
	;; [unrolled: 3-line block ×5, first 2 shown]
	v_fma_f64 v[118:119], v[120:121], v[88:89], -v[95:96]
	v_fma_f64 v[120:121], v[122:123], v[88:89], v[90:91]
	v_fma_f64 v[88:89], v[124:125], v[104:105], -v[140:141]
	v_fma_f64 v[90:91], v[126:127], v[104:105], v[106:107]
	v_fma_f64 v[104:105], v[128:129], v[108:109], -v[142:143]
	v_fma_f64 v[106:107], v[130:131], v[108:109], v[110:111]
	v_fma_f64 v[108:109], v[132:133], v[112:113], -v[144:145]
	v_fma_f64 v[110:111], v[134:135], v[112:113], v[114:115]
	v_fma_f64 v[112:113], v[136:137], v[116:117], -v[146:147]
	v_fma_f64 v[114:115], v[138:139], v[116:117], v[148:149]
	ds_write_b128 v94, v[118:121]
	ds_write_b128 v94, v[88:91] offset:3600
	ds_write_b128 v94, v[104:107] offset:7200
	;; [unrolled: 1-line block ×4, first 2 shown]
	s_waitcnt lgkmcnt(0)
	s_barrier
	buffer_gl0_inv
	ds_read_b128 v[88:91], v94 offset:7200
	ds_read_b128 v[104:107], v94 offset:10800
	;; [unrolled: 1-line block ×4, first 2 shown]
	ds_read_b128 v[116:119], v94
	s_waitcnt lgkmcnt(0)
	s_barrier
	buffer_gl0_inv
	v_add_f64 v[95:96], v[88:89], v[104:105]
	v_add_f64 v[122:123], v[90:91], v[106:107]
	;; [unrolled: 1-line block ×6, first 2 shown]
	v_add_f64 v[128:129], v[110:111], -v[114:115]
	v_add_f64 v[130:131], v[90:91], -v[106:107]
	;; [unrolled: 1-line block ×9, first 2 shown]
	v_fma_f64 v[95:96], v[95:96], -0.5, v[116:117]
	v_fma_f64 v[122:123], v[122:123], -0.5, v[118:119]
	;; [unrolled: 1-line block ×3, first 2 shown]
	v_add_f64 v[120:121], v[88:89], -v[104:105]
	v_fma_f64 v[118:119], v[124:125], -0.5, v[118:119]
	v_add_f64 v[124:125], v[108:109], -v[88:89]
	v_add_f64 v[108:109], v[88:89], -v[108:109]
	v_add_f64 v[88:89], v[126:127], v[88:89]
	v_add_f64 v[90:91], v[132:133], v[90:91]
	;; [unrolled: 1-line block ×3, first 2 shown]
	v_fma_f64 v[126:127], v[128:129], s[14:15], v[95:96]
	v_fma_f64 v[146:147], v[134:135], s[12:13], v[122:123]
	v_fma_f64 v[132:133], v[130:131], s[12:13], v[116:117]
	v_fma_f64 v[116:117], v[130:131], s[14:15], v[116:117]
	v_fma_f64 v[148:149], v[120:121], s[14:15], v[118:119]
	v_fma_f64 v[118:119], v[120:121], s[12:13], v[118:119]
	v_fma_f64 v[95:96], v[128:129], s[12:13], v[95:96]
	v_fma_f64 v[122:123], v[134:135], s[14:15], v[122:123]
	v_add_f64 v[88:89], v[88:89], v[104:105]
	v_add_f64 v[90:91], v[90:91], v[106:107]
	;; [unrolled: 1-line block ×5, first 2 shown]
	v_fma_f64 v[104:105], v[130:131], s[16:17], v[126:127]
	v_fma_f64 v[126:127], v[120:121], s[18:19], v[146:147]
	;; [unrolled: 1-line block ×8, first 2 shown]
	v_add_f64 v[88:89], v[88:89], v[112:113]
	v_add_f64 v[90:91], v[90:91], v[114:115]
	v_fma_f64 v[104:105], v[124:125], s[20:21], v[104:105]
	v_fma_f64 v[112:113], v[136:137], s[20:21], v[106:107]
	;; [unrolled: 1-line block ×8, first 2 shown]
	ds_write_b128 v97, v[88:91]
	ds_write_b128 v97, v[104:107] offset:16
	ds_write_b128 v97, v[112:115] offset:32
	;; [unrolled: 1-line block ×4, first 2 shown]
	s_waitcnt lgkmcnt(0)
	s_barrier
	buffer_gl0_inv
	ds_read_b128 v[88:91], v94 offset:3600
	ds_read_b128 v[104:107], v94 offset:7200
	ds_read_b128 v[108:111], v94 offset:10800
	ds_read_b128 v[112:115], v94 offset:14400
	s_waitcnt lgkmcnt(3)
	v_mul_f64 v[95:96], v[26:27], v[90:91]
	s_waitcnt lgkmcnt(2)
	v_mul_f64 v[116:117], v[22:23], v[106:107]
	;; [unrolled: 2-line block ×3, first 2 shown]
	v_mul_f64 v[26:27], v[26:27], v[88:89]
	v_mul_f64 v[22:23], v[22:23], v[104:105]
	;; [unrolled: 1-line block ×3, first 2 shown]
	s_waitcnt lgkmcnt(0)
	v_mul_f64 v[120:121], v[30:31], v[114:115]
	v_mul_f64 v[30:31], v[30:31], v[112:113]
	v_fma_f64 v[88:89], v[24:25], v[88:89], v[95:96]
	v_fma_f64 v[95:96], v[20:21], v[104:105], v[116:117]
	;; [unrolled: 1-line block ×3, first 2 shown]
	v_fma_f64 v[24:25], v[24:25], v[90:91], -v[26:27]
	v_fma_f64 v[90:91], v[20:21], v[106:107], -v[22:23]
	;; [unrolled: 1-line block ×3, first 2 shown]
	v_fma_f64 v[26:27], v[28:29], v[112:113], v[120:121]
	v_fma_f64 v[28:29], v[28:29], v[114:115], -v[30:31]
	ds_read_b128 v[20:23], v94
	s_waitcnt lgkmcnt(0)
	s_barrier
	buffer_gl0_inv
	v_add_f64 v[30:31], v[95:96], v[104:105]
	v_add_f64 v[124:125], v[24:25], -v[90:91]
	v_add_f64 v[106:107], v[90:91], v[32:33]
	v_add_f64 v[34:35], v[88:89], v[26:27]
	;; [unrolled: 1-line block ×5, first 2 shown]
	v_add_f64 v[112:113], v[24:25], -v[28:29]
	v_add_f64 v[118:119], v[88:89], -v[26:27]
	;; [unrolled: 1-line block ×8, first 2 shown]
	v_fma_f64 v[30:31], v[30:31], -0.5, v[20:21]
	v_fma_f64 v[106:107], v[106:107], -0.5, v[22:23]
	;; [unrolled: 1-line block ×3, first 2 shown]
	v_add_f64 v[34:35], v[95:96], -v[104:105]
	v_fma_f64 v[22:23], v[108:109], -0.5, v[22:23]
	v_add_f64 v[108:109], v[88:89], -v[95:96]
	v_add_f64 v[88:89], v[95:96], -v[88:89]
	v_add_f64 v[95:96], v[110:111], v[95:96]
	v_add_f64 v[90:91], v[116:117], v[90:91]
	v_fma_f64 v[110:111], v[112:113], s[14:15], v[30:31]
	v_fma_f64 v[30:31], v[112:113], s[12:13], v[30:31]
	;; [unrolled: 1-line block ×8, first 2 shown]
	v_add_f64 v[108:109], v[108:109], v[120:121]
	v_add_f64 v[120:121], v[88:89], v[122:123]
	;; [unrolled: 1-line block ×6, first 2 shown]
	v_fma_f64 v[88:89], v[114:115], s[16:17], v[110:111]
	v_fma_f64 v[30:31], v[114:115], s[18:19], v[30:31]
	;; [unrolled: 1-line block ×8, first 2 shown]
	v_add_f64 v[24:25], v[24:25], v[26:27]
	v_add_f64 v[26:27], v[32:33], v[28:29]
	v_fma_f64 v[32:33], v[108:109], s[20:21], v[88:89]
	v_fma_f64 v[28:29], v[108:109], s[20:21], v[30:31]
	;; [unrolled: 1-line block ×8, first 2 shown]
	ds_write_b128 v100, v[24:27]
	ds_write_b128 v100, v[32:35] offset:80
	ds_write_b128 v100, v[88:91] offset:160
	;; [unrolled: 1-line block ×4, first 2 shown]
	s_waitcnt lgkmcnt(0)
	s_barrier
	buffer_gl0_inv
	ds_read_b128 v[24:27], v94
	ds_read_b128 v[32:35], v94 offset:6000
	ds_read_b128 v[88:91], v94 offset:12000
	s_and_saveexec_b32 s0, vcc_lo
	s_cbranch_execz .LBB0_11
; %bb.10:
	ds_read_b128 v[20:23], v94 offset:3600
	ds_read_b128 v[28:31], v94 offset:9600
	;; [unrolled: 1-line block ×3, first 2 shown]
.LBB0_11:
	s_or_b32 exec_lo, exec_lo, s0
	s_waitcnt lgkmcnt(1)
	v_mul_f64 v[95:96], v[42:43], v[34:35]
	s_waitcnt lgkmcnt(0)
	v_mul_f64 v[104:105], v[38:39], v[90:91]
	v_mul_f64 v[42:43], v[42:43], v[32:33]
	;; [unrolled: 1-line block ×7, first 2 shown]
	s_mov_b32 s0, 0xe8584caa
	s_mov_b32 s1, 0xbfebb67a
	;; [unrolled: 1-line block ×4, first 2 shown]
	s_barrier
	buffer_gl0_inv
	v_fma_f64 v[32:33], v[40:41], v[32:33], v[95:96]
	v_fma_f64 v[88:89], v[36:37], v[88:89], v[104:105]
	v_fma_f64 v[34:35], v[40:41], v[34:35], -v[42:43]
	v_fma_f64 v[36:37], v[36:37], v[90:91], -v[38:39]
	v_fma_f64 v[28:29], v[48:49], v[28:29], v[106:107]
	v_fma_f64 v[38:39], v[44:45], v[84:85], v[108:109]
	v_fma_f64 v[30:31], v[48:49], v[30:31], -v[50:51]
	v_fma_f64 v[40:41], v[44:45], v[86:87], -v[46:47]
	v_add_f64 v[50:51], v[24:25], v[32:33]
	v_add_f64 v[42:43], v[32:33], v[88:89]
	;; [unrolled: 1-line block ×3, first 2 shown]
	v_add_f64 v[84:85], v[34:35], -v[36:37]
	v_add_f64 v[46:47], v[28:29], v[38:39]
	v_add_f64 v[34:35], v[26:27], v[34:35]
	;; [unrolled: 1-line block ×5, first 2 shown]
	v_add_f64 v[30:31], v[30:31], -v[40:41]
	v_fma_f64 v[24:25], v[42:43], -0.5, v[24:25]
	v_add_f64 v[42:43], v[32:33], -v[88:89]
	v_fma_f64 v[26:27], v[44:45], -0.5, v[26:27]
	v_add_f64 v[32:33], v[50:51], v[88:89]
	v_fma_f64 v[44:45], v[46:47], -0.5, v[20:21]
	v_add_f64 v[46:47], v[28:29], -v[38:39]
	v_fma_f64 v[48:49], v[48:49], -0.5, v[22:23]
	v_add_f64 v[34:35], v[34:35], v[36:37]
	v_add_f64 v[20:21], v[86:87], v[38:39]
	;; [unrolled: 1-line block ×3, first 2 shown]
	v_fma_f64 v[36:37], v[84:85], s[0:1], v[24:25]
	v_fma_f64 v[40:41], v[84:85], s[2:3], v[24:25]
	v_fma_f64 v[38:39], v[42:43], s[2:3], v[26:27]
	v_fma_f64 v[42:43], v[42:43], s[0:1], v[26:27]
	v_fma_f64 v[24:25], v[30:31], s[0:1], v[44:45]
	v_fma_f64 v[28:29], v[30:31], s[2:3], v[44:45]
	v_fma_f64 v[26:27], v[46:47], s[2:3], v[48:49]
	v_fma_f64 v[30:31], v[46:47], s[0:1], v[48:49]
	ds_write_b128 v101, v[32:35]
	ds_write_b128 v101, v[36:39] offset:400
	ds_write_b128 v101, v[40:43] offset:800
	s_and_saveexec_b32 s0, vcc_lo
	s_cbranch_execz .LBB0_13
; %bb.12:
	v_mad_u16 v32, 0x4b, v98, v99
	v_mov_b32_e32 v33, 4
	v_lshlrev_b32_sdwa v32, v33, v32 dst_sel:DWORD dst_unused:UNUSED_PAD src0_sel:DWORD src1_sel:WORD_0
	ds_write_b128 v32, v[20:23]
	ds_write_b128 v32, v[24:27] offset:400
	ds_write_b128 v32, v[28:31] offset:800
.LBB0_13:
	s_or_b32 exec_lo, exec_lo, s0
	s_waitcnt lgkmcnt(0)
	s_barrier
	buffer_gl0_inv
	ds_read_b128 v[32:35], v94
	ds_read_b128 v[36:39], v94 offset:6000
	ds_read_b128 v[40:43], v94 offset:12000
	s_and_saveexec_b32 s0, vcc_lo
	s_cbranch_execz .LBB0_15
; %bb.14:
	ds_read_b128 v[20:23], v94 offset:3600
	ds_read_b128 v[24:27], v94 offset:9600
	;; [unrolled: 1-line block ×3, first 2 shown]
.LBB0_15:
	s_or_b32 exec_lo, exec_lo, s0
	s_waitcnt lgkmcnt(1)
	v_mul_f64 v[44:45], v[66:67], v[38:39]
	s_waitcnt lgkmcnt(0)
	v_mul_f64 v[46:47], v[62:63], v[42:43]
	v_mul_f64 v[48:49], v[66:67], v[36:37]
	;; [unrolled: 1-line block ×3, first 2 shown]
	s_mov_b32 s0, 0xe8584caa
	s_mov_b32 s1, 0xbfebb67a
	s_mov_b32 s2, s0
	s_barrier
	buffer_gl0_inv
	v_fma_f64 v[36:37], v[64:65], v[36:37], v[44:45]
	v_fma_f64 v[40:41], v[60:61], v[40:41], v[46:47]
	v_fma_f64 v[38:39], v[64:65], v[38:39], -v[48:49]
	v_fma_f64 v[42:43], v[60:61], v[42:43], -v[50:51]
	v_add_f64 v[48:49], v[32:33], v[36:37]
	v_add_f64 v[44:45], v[36:37], v[40:41]
	v_add_f64 v[60:61], v[36:37], -v[40:41]
	v_add_f64 v[46:47], v[38:39], v[42:43]
	v_add_f64 v[50:51], v[38:39], -v[42:43]
	v_add_f64 v[38:39], v[34:35], v[38:39]
	v_fma_f64 v[44:45], v[44:45], -0.5, v[32:33]
	v_add_f64 v[32:33], v[48:49], v[40:41]
	v_fma_f64 v[46:47], v[46:47], -0.5, v[34:35]
	v_add_f64 v[34:35], v[38:39], v[42:43]
	v_fma_f64 v[36:37], v[50:51], s[0:1], v[44:45]
	v_fma_f64 v[40:41], v[50:51], s[2:3], v[44:45]
	;; [unrolled: 1-line block ×4, first 2 shown]
	ds_write_b128 v103, v[32:35]
	ds_write_b128 v103, v[36:39] offset:1200
	ds_write_b128 v103, v[40:43] offset:2400
	s_and_saveexec_b32 s4, vcc_lo
	s_cbranch_execz .LBB0_17
; %bb.16:
	v_mul_f64 v[32:33], v[58:59], v[24:25]
	v_mul_f64 v[34:35], v[54:55], v[28:29]
	;; [unrolled: 1-line block ×4, first 2 shown]
	v_fma_f64 v[26:27], v[56:57], v[26:27], -v[32:33]
	v_fma_f64 v[30:31], v[52:53], v[30:31], -v[34:35]
	v_fma_f64 v[24:25], v[56:57], v[24:25], v[36:37]
	v_fma_f64 v[28:29], v[52:53], v[28:29], v[38:39]
	v_add_f64 v[38:39], v[22:23], v[26:27]
	v_add_f64 v[32:33], v[26:27], v[30:31]
	v_add_f64 v[40:41], v[26:27], -v[30:31]
	v_add_f64 v[34:35], v[24:25], v[28:29]
	v_add_f64 v[36:37], v[24:25], -v[28:29]
	v_add_f64 v[24:25], v[20:21], v[24:25]
	v_fma_f64 v[32:33], v[32:33], -0.5, v[22:23]
	v_add_f64 v[22:23], v[38:39], v[30:31]
	v_fma_f64 v[34:35], v[34:35], -0.5, v[20:21]
	v_add_f64 v[20:21], v[24:25], v[28:29]
	v_fma_f64 v[30:31], v[36:37], s[2:3], v[32:33]
	v_fma_f64 v[26:27], v[36:37], s[0:1], v[32:33]
	;; [unrolled: 1-line block ×4, first 2 shown]
	v_mov_b32_e32 v32, 4
	v_lshlrev_b32_sdwa v32, v32, v102 dst_sel:DWORD dst_unused:UNUSED_PAD src0_sel:DWORD src1_sel:WORD_0
	ds_write_b128 v32, v[20:23]
	ds_write_b128 v32, v[28:31] offset:1200
	ds_write_b128 v32, v[24:27] offset:2400
.LBB0_17:
	s_or_b32 exec_lo, exec_lo, s4
	s_waitcnt lgkmcnt(0)
	s_barrier
	buffer_gl0_inv
	ds_read_b128 v[20:23], v94 offset:3600
	ds_read_b128 v[24:27], v94 offset:7200
	;; [unrolled: 1-line block ×4, first 2 shown]
	s_mov_b32 s0, 0x134454ff
	s_mov_b32 s1, 0xbfee6f0e
	;; [unrolled: 1-line block ×4, first 2 shown]
	s_mul_i32 s4, s8, 0xe10
	s_waitcnt lgkmcnt(3)
	v_mul_f64 v[36:37], v[70:71], v[22:23]
	s_waitcnt lgkmcnt(2)
	v_mul_f64 v[38:39], v[82:83], v[26:27]
	;; [unrolled: 2-line block ×4, first 2 shown]
	v_mul_f64 v[46:47], v[82:83], v[24:25]
	v_mul_f64 v[48:49], v[78:79], v[28:29]
	v_mul_f64 v[42:43], v[70:71], v[20:21]
	v_mul_f64 v[50:51], v[74:75], v[32:33]
	v_fma_f64 v[36:37], v[68:69], v[20:21], v[36:37]
	v_fma_f64 v[24:25], v[80:81], v[24:25], v[38:39]
	v_fma_f64 v[28:29], v[76:77], v[28:29], v[40:41]
	v_fma_f64 v[32:33], v[72:73], v[32:33], v[44:45]
	v_fma_f64 v[26:27], v[80:81], v[26:27], -v[46:47]
	v_fma_f64 v[30:31], v[76:77], v[30:31], -v[48:49]
	v_fma_f64 v[38:39], v[68:69], v[22:23], -v[42:43]
	v_fma_f64 v[34:35], v[72:73], v[34:35], -v[50:51]
	ds_read_b128 v[20:23], v94
	v_add_f64 v[40:41], v[24:25], v[28:29]
	v_add_f64 v[42:43], v[36:37], v[32:33]
	v_add_f64 v[56:57], v[36:37], -v[32:33]
	v_add_f64 v[44:45], v[26:27], v[30:31]
	s_waitcnt lgkmcnt(0)
	v_add_f64 v[48:49], v[20:21], v[36:37]
	v_add_f64 v[46:47], v[38:39], v[34:35]
	;; [unrolled: 1-line block ×3, first 2 shown]
	v_add_f64 v[50:51], v[38:39], -v[34:35]
	v_add_f64 v[52:53], v[26:27], -v[30:31]
	;; [unrolled: 1-line block ×8, first 2 shown]
	v_fma_f64 v[40:41], v[40:41], -0.5, v[20:21]
	v_fma_f64 v[20:21], v[42:43], -0.5, v[20:21]
	v_add_f64 v[42:43], v[24:25], -v[28:29]
	v_fma_f64 v[44:45], v[44:45], -0.5, v[22:23]
	v_fma_f64 v[22:23], v[46:47], -0.5, v[22:23]
	v_add_f64 v[46:47], v[36:37], -v[24:25]
	v_add_f64 v[36:37], v[24:25], -v[36:37]
	v_add_f64 v[24:25], v[48:49], v[24:25]
	v_add_f64 v[26:27], v[54:55], v[26:27]
	;; [unrolled: 1-line block ×3, first 2 shown]
	v_fma_f64 v[48:49], v[50:51], s[0:1], v[40:41]
	v_fma_f64 v[40:41], v[50:51], s[2:3], v[40:41]
	;; [unrolled: 1-line block ×8, first 2 shown]
	s_mov_b32 s0, 0x4755a5e
	s_mov_b32 s1, 0xbfe2cf23
	;; [unrolled: 1-line block ×4, first 2 shown]
	v_add_f64 v[24:25], v[24:25], v[28:29]
	v_add_f64 v[26:27], v[26:27], v[30:31]
	;; [unrolled: 1-line block ×5, first 2 shown]
	v_fma_f64 v[28:29], v[52:53], s[0:1], v[48:49]
	v_fma_f64 v[30:31], v[52:53], s[2:3], v[40:41]
	;; [unrolled: 1-line block ×8, first 2 shown]
	s_mov_b32 s0, 0x372fe950
	s_mov_b32 s1, 0x3fd3c6ef
	s_mul_i32 s2, s9, 0xe10
	s_mul_hi_u32 s3, s8, 0xe10
	v_add_f64 v[20:21], v[24:25], v[32:33]
	v_add_f64 v[22:23], v[26:27], v[34:35]
	s_add_i32 s3, s3, s2
	v_fma_f64 v[24:25], v[46:47], s[0:1], v[28:29]
	v_fma_f64 v[28:29], v[46:47], s[0:1], v[30:31]
	;; [unrolled: 1-line block ×8, first 2 shown]
	v_mad_u64_u32 v[40:41], null, s10, v92, 0
	v_mad_u64_u32 v[42:43], null, s8, v93, 0
	s_mov_b32 s0, 0x5a912e32
	s_mov_b32 s1, 0x3f4d208a
	ds_write_b128 v94, v[20:23]
	ds_write_b128 v94, v[24:27] offset:3600
	ds_write_b128 v94, v[32:35] offset:7200
	;; [unrolled: 1-line block ×4, first 2 shown]
	s_waitcnt lgkmcnt(0)
	s_barrier
	buffer_gl0_inv
	ds_read_b128 v[20:23], v94
	ds_read_b128 v[24:27], v94 offset:3600
	ds_read_b128 v[28:31], v94 offset:7200
	;; [unrolled: 1-line block ×4, first 2 shown]
	v_mad_u64_u32 v[44:45], null, s11, v92, v[41:42]
	v_mad_u64_u32 v[55:56], null, s9, v93, v[43:44]
	v_mov_b32_e32 v41, v44
	v_lshlrev_b64 v[40:41], 4, v[40:41]
	s_waitcnt lgkmcnt(4)
	v_mul_f64 v[45:46], v[2:3], v[22:23]
	v_mul_f64 v[2:3], v[2:3], v[20:21]
	s_waitcnt lgkmcnt(3)
	v_mul_f64 v[47:48], v[6:7], v[26:27]
	v_mul_f64 v[6:7], v[6:7], v[24:25]
	;; [unrolled: 3-line block ×5, first 2 shown]
	v_mov_b32_e32 v43, v55
	v_fma_f64 v[20:21], v[0:1], v[20:21], v[45:46]
	v_fma_f64 v[2:3], v[0:1], v[22:23], -v[2:3]
	v_fma_f64 v[22:23], v[4:5], v[24:25], v[47:48]
	v_fma_f64 v[6:7], v[4:5], v[26:27], -v[6:7]
	;; [unrolled: 2-line block ×5, first 2 shown]
	v_lshlrev_b64 v[0:1], 4, v[42:43]
	v_add_co_u32 v4, vcc_lo, s6, v40
	v_add_co_ci_u32_e32 v5, vcc_lo, s7, v41, vcc_lo
	v_add_co_u32 v30, vcc_lo, v4, v0
	v_add_co_ci_u32_e32 v31, vcc_lo, v5, v1, vcc_lo
	v_mul_f64 v[0:1], v[20:21], s[0:1]
	v_mul_f64 v[2:3], v[2:3], s[0:1]
	;; [unrolled: 1-line block ×10, first 2 shown]
	v_add_co_u32 v20, vcc_lo, v30, s4
	v_add_co_ci_u32_e32 v21, vcc_lo, s3, v31, vcc_lo
	v_add_co_u32 v22, vcc_lo, v20, s4
	v_add_co_ci_u32_e32 v23, vcc_lo, s3, v21, vcc_lo
	;; [unrolled: 2-line block ×4, first 2 shown]
	global_store_dwordx4 v[30:31], v[0:3], off
	global_store_dwordx4 v[20:21], v[4:7], off
	;; [unrolled: 1-line block ×5, first 2 shown]
.LBB0_18:
	s_endpgm
	.section	.rodata,"a",@progbits
	.p2align	6, 0x0
	.amdhsa_kernel bluestein_single_back_len1125_dim1_dp_op_CI_CI
		.amdhsa_group_segment_fixed_size 18000
		.amdhsa_private_segment_fixed_size 0
		.amdhsa_kernarg_size 104
		.amdhsa_user_sgpr_count 6
		.amdhsa_user_sgpr_private_segment_buffer 1
		.amdhsa_user_sgpr_dispatch_ptr 0
		.amdhsa_user_sgpr_queue_ptr 0
		.amdhsa_user_sgpr_kernarg_segment_ptr 1
		.amdhsa_user_sgpr_dispatch_id 0
		.amdhsa_user_sgpr_flat_scratch_init 0
		.amdhsa_user_sgpr_private_segment_size 0
		.amdhsa_wavefront_size32 1
		.amdhsa_uses_dynamic_stack 0
		.amdhsa_system_sgpr_private_segment_wavefront_offset 0
		.amdhsa_system_sgpr_workgroup_id_x 1
		.amdhsa_system_sgpr_workgroup_id_y 0
		.amdhsa_system_sgpr_workgroup_id_z 0
		.amdhsa_system_sgpr_workgroup_info 0
		.amdhsa_system_vgpr_workitem_id 0
		.amdhsa_next_free_vgpr 152
		.amdhsa_next_free_sgpr 22
		.amdhsa_reserve_vcc 1
		.amdhsa_reserve_flat_scratch 0
		.amdhsa_float_round_mode_32 0
		.amdhsa_float_round_mode_16_64 0
		.amdhsa_float_denorm_mode_32 3
		.amdhsa_float_denorm_mode_16_64 3
		.amdhsa_dx10_clamp 1
		.amdhsa_ieee_mode 1
		.amdhsa_fp16_overflow 0
		.amdhsa_workgroup_processor_mode 1
		.amdhsa_memory_ordered 1
		.amdhsa_forward_progress 0
		.amdhsa_shared_vgpr_count 0
		.amdhsa_exception_fp_ieee_invalid_op 0
		.amdhsa_exception_fp_denorm_src 0
		.amdhsa_exception_fp_ieee_div_zero 0
		.amdhsa_exception_fp_ieee_overflow 0
		.amdhsa_exception_fp_ieee_underflow 0
		.amdhsa_exception_fp_ieee_inexact 0
		.amdhsa_exception_int_div_zero 0
	.end_amdhsa_kernel
	.text
.Lfunc_end0:
	.size	bluestein_single_back_len1125_dim1_dp_op_CI_CI, .Lfunc_end0-bluestein_single_back_len1125_dim1_dp_op_CI_CI
                                        ; -- End function
	.section	.AMDGPU.csdata,"",@progbits
; Kernel info:
; codeLenInByte = 8640
; NumSgprs: 24
; NumVgprs: 152
; ScratchSize: 0
; MemoryBound: 0
; FloatMode: 240
; IeeeMode: 1
; LDSByteSize: 18000 bytes/workgroup (compile time only)
; SGPRBlocks: 2
; VGPRBlocks: 18
; NumSGPRsForWavesPerEU: 24
; NumVGPRsForWavesPerEU: 152
; Occupancy: 6
; WaveLimiterHint : 1
; COMPUTE_PGM_RSRC2:SCRATCH_EN: 0
; COMPUTE_PGM_RSRC2:USER_SGPR: 6
; COMPUTE_PGM_RSRC2:TRAP_HANDLER: 0
; COMPUTE_PGM_RSRC2:TGID_X_EN: 1
; COMPUTE_PGM_RSRC2:TGID_Y_EN: 0
; COMPUTE_PGM_RSRC2:TGID_Z_EN: 0
; COMPUTE_PGM_RSRC2:TIDIG_COMP_CNT: 0
	.text
	.p2alignl 6, 3214868480
	.fill 48, 4, 3214868480
	.type	__hip_cuid_a04dddd9eceeb41c,@object ; @__hip_cuid_a04dddd9eceeb41c
	.section	.bss,"aw",@nobits
	.globl	__hip_cuid_a04dddd9eceeb41c
__hip_cuid_a04dddd9eceeb41c:
	.byte	0                               ; 0x0
	.size	__hip_cuid_a04dddd9eceeb41c, 1

	.ident	"AMD clang version 19.0.0git (https://github.com/RadeonOpenCompute/llvm-project roc-6.4.0 25133 c7fe45cf4b819c5991fe208aaa96edf142730f1d)"
	.section	".note.GNU-stack","",@progbits
	.addrsig
	.addrsig_sym __hip_cuid_a04dddd9eceeb41c
	.amdgpu_metadata
---
amdhsa.kernels:
  - .args:
      - .actual_access:  read_only
        .address_space:  global
        .offset:         0
        .size:           8
        .value_kind:     global_buffer
      - .actual_access:  read_only
        .address_space:  global
        .offset:         8
        .size:           8
        .value_kind:     global_buffer
      - .actual_access:  read_only
        .address_space:  global
        .offset:         16
        .size:           8
        .value_kind:     global_buffer
      - .actual_access:  read_only
        .address_space:  global
        .offset:         24
        .size:           8
        .value_kind:     global_buffer
      - .actual_access:  read_only
        .address_space:  global
        .offset:         32
        .size:           8
        .value_kind:     global_buffer
      - .offset:         40
        .size:           8
        .value_kind:     by_value
      - .address_space:  global
        .offset:         48
        .size:           8
        .value_kind:     global_buffer
      - .address_space:  global
        .offset:         56
        .size:           8
        .value_kind:     global_buffer
      - .address_space:  global
        .offset:         64
        .size:           8
        .value_kind:     global_buffer
      - .address_space:  global
        .offset:         72
        .size:           8
        .value_kind:     global_buffer
      - .offset:         80
        .size:           4
        .value_kind:     by_value
      - .address_space:  global
        .offset:         88
        .size:           8
        .value_kind:     global_buffer
      - .address_space:  global
        .offset:         96
        .size:           8
        .value_kind:     global_buffer
    .group_segment_fixed_size: 18000
    .kernarg_segment_align: 8
    .kernarg_segment_size: 104
    .language:       OpenCL C
    .language_version:
      - 2
      - 0
    .max_flat_workgroup_size: 225
    .name:           bluestein_single_back_len1125_dim1_dp_op_CI_CI
    .private_segment_fixed_size: 0
    .sgpr_count:     24
    .sgpr_spill_count: 0
    .symbol:         bluestein_single_back_len1125_dim1_dp_op_CI_CI.kd
    .uniform_work_group_size: 1
    .uses_dynamic_stack: false
    .vgpr_count:     152
    .vgpr_spill_count: 0
    .wavefront_size: 32
    .workgroup_processor_mode: 1
amdhsa.target:   amdgcn-amd-amdhsa--gfx1030
amdhsa.version:
  - 1
  - 2
...

	.end_amdgpu_metadata
